;; amdgpu-corpus repo=ROCm/rocFFT kind=compiled arch=gfx1030 opt=O3
	.text
	.amdgcn_target "amdgcn-amd-amdhsa--gfx1030"
	.amdhsa_code_object_version 6
	.protected	fft_rtc_back_len168_factors_2_3_4_7_wgs_196_tpt_14_dim3_sp_ip_CI_sbcc_twdbase8_2step_dirReg ; -- Begin function fft_rtc_back_len168_factors_2_3_4_7_wgs_196_tpt_14_dim3_sp_ip_CI_sbcc_twdbase8_2step_dirReg
	.globl	fft_rtc_back_len168_factors_2_3_4_7_wgs_196_tpt_14_dim3_sp_ip_CI_sbcc_twdbase8_2step_dirReg
	.p2align	8
	.type	fft_rtc_back_len168_factors_2_3_4_7_wgs_196_tpt_14_dim3_sp_ip_CI_sbcc_twdbase8_2step_dirReg,@function
fft_rtc_back_len168_factors_2_3_4_7_wgs_196_tpt_14_dim3_sp_ip_CI_sbcc_twdbase8_2step_dirReg: ; @fft_rtc_back_len168_factors_2_3_4_7_wgs_196_tpt_14_dim3_sp_ip_CI_sbcc_twdbase8_2step_dirReg
; %bb.0:
	s_load_dwordx4 s[0:3], s[4:5], 0x10
	s_waitcnt lgkmcnt(0)
	s_load_dwordx2 s[10:11], s[0:1], 0x8
	s_waitcnt lgkmcnt(0)
	s_add_u32 s7, s10, -1
	s_addc_u32 s8, s11, -1
	s_add_u32 s9, 0, 0x49240800
	s_addc_u32 s12, 0, 50
	s_mul_hi_u32 s14, s9, -14
	s_add_i32 s12, s12, 0x12492460
	s_sub_i32 s14, s14, s9
	s_mul_i32 s16, s12, -14
	s_mul_i32 s13, s9, -14
	s_add_i32 s14, s14, s16
	s_mul_hi_u32 s15, s9, s13
	s_mul_i32 s18, s9, s14
	s_mul_hi_u32 s16, s9, s14
	s_mul_hi_u32 s17, s12, s13
	s_mul_i32 s13, s12, s13
	s_add_u32 s15, s15, s18
	s_addc_u32 s16, 0, s16
	s_mul_hi_u32 s19, s12, s14
	s_add_u32 s13, s15, s13
	s_mul_i32 s14, s12, s14
	s_addc_u32 s13, s16, s17
	s_addc_u32 s15, s19, 0
	s_add_u32 s13, s13, s14
	v_add_co_u32 v1, s9, s9, s13
	s_addc_u32 s13, 0, s15
	s_cmp_lg_u32 s9, 0
	s_addc_u32 s9, s12, s13
	v_readfirstlane_b32 s12, v1
	s_mul_i32 s14, s7, s9
	s_mul_hi_u32 s13, s7, s9
	s_mul_hi_u32 s15, s8, s9
	s_mul_i32 s9, s8, s9
	s_mul_hi_u32 s16, s7, s12
	s_mul_hi_u32 s17, s8, s12
	s_mul_i32 s12, s8, s12
	s_add_u32 s14, s16, s14
	s_addc_u32 s13, 0, s13
	s_add_u32 s12, s14, s12
	s_addc_u32 s12, s13, s17
	s_addc_u32 s13, s15, 0
	s_add_u32 s9, s12, s9
	s_addc_u32 s12, 0, s13
	s_mul_i32 s14, s9, 14
	s_add_u32 s13, s9, 1
	v_sub_co_u32 v1, s7, s7, s14
	s_mul_hi_u32 s14, s9, 14
	s_addc_u32 s15, s12, 0
	s_mul_i32 s16, s12, 14
	v_sub_co_u32 v2, s17, v1, 14
	s_add_u32 s18, s9, 2
	s_addc_u32 s19, s12, 0
	s_add_i32 s14, s14, s16
	s_cmp_lg_u32 s7, 0
	v_readfirstlane_b32 s7, v2
	s_subb_u32 s8, s8, s14
	s_cmp_lg_u32 s17, 0
	s_subb_u32 s14, s8, 0
	s_cmp_gt_u32 s7, 13
	s_cselect_b32 s7, -1, 0
	s_cmp_eq_u32 s14, 0
	v_readfirstlane_b32 s14, v1
	s_cselect_b32 s7, s7, -1
	s_cmp_lg_u32 s7, 0
	s_cselect_b32 s13, s18, s13
	s_cselect_b32 s15, s19, s15
	s_cmp_gt_u32 s14, 13
	s_mov_b64 s[18:19], 0
	s_cselect_b32 s7, -1, 0
	s_cmp_eq_u32 s8, 0
	s_cselect_b32 s7, s7, -1
	s_cmp_lg_u32 s7, 0
	s_mov_b32 s7, 0
	s_cselect_b32 s8, s13, s9
	s_cselect_b32 s9, s15, s12
	s_add_u32 s16, s8, 1
	s_addc_u32 s17, s9, 0
	v_cmp_lt_u64_e64 s8, s[6:7], s[16:17]
	s_and_b32 vcc_lo, exec_lo, s8
	s_cbranch_vccnz .LBB0_2
; %bb.1:
	v_cvt_f32_u32_e32 v1, s16
	s_sub_i32 s9, 0, s16
	s_mov_b32 s19, s7
	v_rcp_iflag_f32_e32 v1, v1
	v_mul_f32_e32 v1, 0x4f7ffffe, v1
	v_cvt_u32_f32_e32 v1, v1
	v_readfirstlane_b32 s8, v1
	s_mul_i32 s9, s9, s8
	s_mul_hi_u32 s9, s8, s9
	s_add_i32 s8, s8, s9
	s_mul_hi_u32 s8, s6, s8
	s_mul_i32 s9, s8, s16
	s_add_i32 s12, s8, 1
	s_sub_i32 s9, s6, s9
	s_sub_i32 s13, s9, s16
	s_cmp_ge_u32 s9, s16
	s_cselect_b32 s8, s12, s8
	s_cselect_b32 s9, s13, s9
	s_add_i32 s12, s8, 1
	s_cmp_ge_u32 s9, s16
	s_cselect_b32 s18, s12, s8
.LBB0_2:
	s_load_dwordx2 s[22:23], s[0:1], 0x10
	s_load_dwordx2 s[12:13], s[2:3], 0x8
	s_waitcnt lgkmcnt(0)
	v_cmp_lt_u64_e64 s0, s[18:19], s[22:23]
	s_and_b32 vcc_lo, exec_lo, s0
	s_mov_b64 s[0:1], s[18:19]
	s_cbranch_vccnz .LBB0_4
; %bb.3:
	v_cvt_f32_u32_e32 v1, s22
	s_sub_i32 s1, 0, s22
	v_rcp_iflag_f32_e32 v1, v1
	v_mul_f32_e32 v1, 0x4f7ffffe, v1
	v_cvt_u32_f32_e32 v1, v1
	v_readfirstlane_b32 s0, v1
	s_mul_i32 s1, s1, s0
	s_mul_hi_u32 s1, s0, s1
	s_add_i32 s0, s0, s1
	s_mul_hi_u32 s0, s18, s0
	s_mul_i32 s0, s0, s22
	s_sub_i32 s0, s18, s0
	s_sub_i32 s1, s0, s22
	s_cmp_ge_u32 s0, s22
	s_cselect_b32 s0, s1, s0
	s_sub_i32 s1, s0, s22
	s_cmp_ge_u32 s0, s22
	s_cselect_b32 s0, s1, s0
.LBB0_4:
	s_load_dwordx2 s[14:15], s[4:5], 0x50
	s_clause 0x1
	s_load_dwordx2 s[8:9], s[2:3], 0x0
	s_load_dwordx2 s[20:21], s[2:3], 0x10
	s_mul_i32 s1, s22, s17
	s_mul_hi_u32 s19, s22, s16
	s_mul_i32 s24, s22, s16
	s_add_i32 s1, s19, s1
	s_mul_i32 s19, s23, s16
	s_mov_b64 s[22:23], 0
	s_add_i32 s25, s1, s19
	v_cmp_lt_u64_e64 s1, s[6:7], s[24:25]
	s_and_b32 vcc_lo, exec_lo, s1
	s_cbranch_vccnz .LBB0_6
; %bb.5:
	v_cvt_f32_u32_e32 v1, s24
	s_sub_i32 s7, 0, s24
	v_rcp_iflag_f32_e32 v1, v1
	v_mul_f32_e32 v1, 0x4f7ffffe, v1
	v_cvt_u32_f32_e32 v1, v1
	v_readfirstlane_b32 s1, v1
	s_mul_i32 s7, s7, s1
	s_mul_hi_u32 s7, s1, s7
	s_add_i32 s1, s1, s7
	s_mul_hi_u32 s1, s6, s1
	s_mul_i32 s7, s1, s24
	s_add_i32 s19, s1, 1
	s_sub_i32 s7, s6, s7
	s_sub_i32 s22, s7, s24
	s_cmp_ge_u32 s7, s24
	s_cselect_b32 s1, s19, s1
	s_cselect_b32 s7, s22, s7
	s_add_i32 s19, s1, 1
	s_cmp_ge_u32 s7, s24
	s_cselect_b32 s22, s19, s1
.LBB0_6:
	s_load_dwordx2 s[2:3], s[2:3], 0x18
	s_mul_i32 s1, s18, s17
	s_mul_hi_u32 s7, s18, s16
	v_mul_u32_u24_e32 v1, 0x124a, v0
	s_mul_i32 s16, s18, s16
	s_add_i32 s7, s7, s1
	s_sub_u32 s1, s6, s16
	s_subb_u32 s6, 0, s7
	v_lshrrev_b32_e32 v72, 16, v1
	s_mul_i32 s6, s6, 14
	s_mul_hi_u32 s7, s1, 14
	s_mul_i32 s17, s1, 14
	s_add_i32 s16, s7, s6
	s_mul_hi_u32 s6, s12, s17
	s_mul_i32 s1, s12, s16
	v_mul_lo_u16 v1, v72, 14
	s_add_i32 s1, s6, s1
	s_mul_i32 s18, s13, s17
	s_load_dwordx2 s[6:7], s[4:5], 0x0
	s_add_i32 s1, s1, s18
	s_waitcnt lgkmcnt(0)
	s_mul_i32 s18, s21, s0
	s_mul_hi_u32 s19, s20, s0
	s_mul_i32 s21, s12, s17
	s_mul_i32 s0, s20, s0
	v_sub_nc_u16 v23, v0, v1
	s_add_i32 s19, s19, s18
	s_mul_i32 s3, s3, s22
	s_mul_hi_u32 s18, s2, s22
	s_add_u32 s0, s0, s21
	s_mul_i32 s2, s2, s22
	s_addc_u32 s1, s19, s1
	s_add_i32 s18, s18, s3
	s_add_u32 s2, s2, s0
	s_addc_u32 s3, s18, s1
	v_and_b32_e32 v74, 0xffff, v23
	s_add_u32 s0, s17, 14
	s_addc_u32 s1, s16, 0
	v_add_nc_u32_e32 v29, 14, v72
	v_cmp_gt_u64_e64 s18, s[0:1], s[10:11]
	v_add_co_u32 v24, s17, s17, v74
	v_cmp_le_u64_e64 s1, s[0:1], s[10:11]
	v_add_co_ci_u32_e64 v25, null, s16, 0, s17
	v_add_nc_u32_e32 v30, 28, v72
	v_add_nc_u32_e32 v31, 42, v72
	;; [unrolled: 1-line block ×3, first 2 shown]
	s_and_b32 vcc_lo, exec_lo, s18
	s_mov_b32 s0, 0
	s_cbranch_vccnz .LBB0_8
; %bb.7:
	v_mad_u64_u32 v[1:2], null, s12, v74, 0
	v_mad_u64_u32 v[3:4], null, s8, v72, 0
	v_add_nc_u32_e32 v11, 0x54, v72
	v_add_nc_u32_e32 v73, 14, v72
	;; [unrolled: 1-line block ×3, first 2 shown]
	s_lshl_b64 s[16:17], s[2:3], 3
	v_add_nc_u32_e32 v28, 28, v72
	s_add_u32 s16, s14, s16
	v_mad_u64_u32 v[5:6], null, s13, v74, v[2:3]
	v_mad_u64_u32 v[9:10], null, s8, v73, 0
	s_addc_u32 s17, s15, s17
	v_add_nc_u32_e32 v20, 0x70, v72
	v_add_nc_u32_e32 v34, 42, v72
	v_add_nc_u32_e32 v33, 56, v72
	v_mad_u64_u32 v[6:7], null, s9, v72, v[4:5]
	v_mad_u64_u32 v[7:8], null, s8, v11, 0
	v_mov_b32_e32 v2, v5
	v_mad_u64_u32 v[18:19], null, s8, v34, 0
	v_add_nc_u32_e32 v35, 0x8c, v72
	v_mov_b32_e32 v4, v6
	v_mov_b32_e32 v6, v10
	;; [unrolled: 1-line block ×3, first 2 shown]
	v_lshlrev_b64 v[1:2], 3, v[1:2]
	v_add_nc_u32_e32 v40, 0x46, v72
	v_lshlrev_b64 v[3:4], 3, v[3:4]
	v_mad_u64_u32 v[10:11], null, s9, v11, v[5:6]
	v_mad_u64_u32 v[5:6], null, s9, v73, v[6:7]
	;; [unrolled: 1-line block ×3, first 2 shown]
	v_add_co_u32 v44, vcc_lo, s16, v1
	v_add_co_ci_u32_e32 v45, vcc_lo, s17, v2, vcc_lo
	v_mov_b32_e32 v8, v10
	v_add_co_u32 v1, vcc_lo, v44, v3
	v_add_co_ci_u32_e32 v2, vcc_lo, v45, v4, vcc_lo
	v_mov_b32_e32 v10, v5
	v_lshlrev_b64 v[4:5], 3, v[7:8]
	v_mov_b32_e32 v3, v12
	v_mad_u64_u32 v[26:27], null, s8, v40, 0
	v_mad_u64_u32 v[6:7], null, s9, v13, v[3:4]
	v_lshlrev_b64 v[7:8], 3, v[9:10]
	v_mad_u64_u32 v[9:10], null, s8, v28, 0
	v_add_co_u32 v3, vcc_lo, v44, v4
	v_add_co_ci_u32_e32 v4, vcc_lo, v45, v5, vcc_lo
	v_mov_b32_e32 v12, v6
	v_add_co_u32 v13, vcc_lo, v44, v7
	v_mov_b32_e32 v5, v10
	v_add_co_ci_u32_e32 v14, vcc_lo, v45, v8, vcc_lo
	v_lshlrev_b64 v[6:7], 3, v[11:12]
	v_mad_u64_u32 v[11:12], null, s8, v20, 0
	v_mad_u64_u32 v[15:16], null, s9, v28, v[5:6]
	v_add_co_u32 v16, vcc_lo, v44, v6
	v_mov_b32_e32 v5, v12
	v_add_co_ci_u32_e32 v17, vcc_lo, v45, v7, vcc_lo
	v_mov_b32_e32 v10, v15
	v_mad_u64_u32 v[20:21], null, s9, v20, v[5:6]
	s_clause 0x3
	global_load_dwordx2 v[5:6], v[1:2], off
	global_load_dwordx2 v[7:8], v[3:4], off
	;; [unrolled: 1-line block ×4, first 2 shown]
	v_mov_b32_e32 v13, v19
	v_add_nc_u32_e32 v21, 0x7e, v72
	v_mad_u64_u32 v[16:17], null, s8, v33, 0
	v_lshlrev_b64 v[9:10], 3, v[9:10]
	v_mad_u64_u32 v[13:14], null, s9, v34, v[13:14]
	v_mad_u64_u32 v[14:15], null, s8, v21, 0
	v_mov_b32_e32 v12, v20
	v_add_co_u32 v9, vcc_lo, v44, v9
	v_add_co_ci_u32_e32 v10, vcc_lo, v45, v10, vcc_lo
	v_mov_b32_e32 v19, v13
	v_mov_b32_e32 v13, v15
	v_lshlrev_b64 v[11:12], 3, v[11:12]
	v_mad_u64_u32 v[20:21], null, s9, v21, v[13:14]
	v_mad_u64_u32 v[21:22], null, s8, v35, 0
	v_mov_b32_e32 v13, v17
	v_lshlrev_b64 v[17:18], 3, v[18:19]
	v_add_co_u32 v11, vcc_lo, v44, v11
	v_mov_b32_e32 v15, v20
	v_mad_u64_u32 v[19:20], null, s9, v33, v[13:14]
	v_mov_b32_e32 v13, v22
	v_add_nc_u32_e32 v20, 0x9a, v72
	v_add_co_ci_u32_e32 v12, vcc_lo, v45, v12, vcc_lo
	v_add_co_u32 v38, vcc_lo, v44, v17
	v_mad_u64_u32 v[35:36], null, s9, v35, v[13:14]
	v_mad_u64_u32 v[36:37], null, s8, v20, 0
	v_lshlrev_b64 v[14:15], 3, v[14:15]
	v_mov_b32_e32 v13, v27
	v_add_co_ci_u32_e32 v39, vcc_lo, v45, v18, vcc_lo
	v_mov_b32_e32 v17, v19
	v_mov_b32_e32 v22, v35
	v_mad_u64_u32 v[18:19], null, s9, v40, v[13:14]
	v_mov_b32_e32 v13, v37
	v_add_co_u32 v14, vcc_lo, v44, v14
	v_lshlrev_b64 v[16:17], 3, v[16:17]
	v_add_co_ci_u32_e32 v15, vcc_lo, v45, v15, vcc_lo
	v_mad_u64_u32 v[19:20], null, s9, v20, v[13:14]
	v_mov_b32_e32 v27, v18
	v_lshlrev_b64 v[20:21], 3, v[21:22]
	v_add_co_u32 v40, vcc_lo, v44, v16
	v_add_co_ci_u32_e32 v41, vcc_lo, v45, v17, vcc_lo
	v_mov_b32_e32 v37, v19
	v_lshlrev_b64 v[16:17], 3, v[26:27]
	v_add_co_u32 v42, vcc_lo, v44, v20
	v_add_co_ci_u32_e32 v43, vcc_lo, v45, v21, vcc_lo
	v_lshlrev_b64 v[18:19], 3, v[36:37]
	v_add_co_u32 v35, vcc_lo, v44, v16
	v_add_co_ci_u32_e32 v36, vcc_lo, v45, v17, vcc_lo
	v_add_co_u32 v44, vcc_lo, v44, v18
	v_add_co_ci_u32_e32 v45, vcc_lo, v45, v19, vcc_lo
	s_clause 0x7
	global_load_dwordx2 v[21:22], v[9:10], off
	global_load_dwordx2 v[26:27], v[11:12], off
	;; [unrolled: 1-line block ×8, first 2 shown]
	s_andn2_b32 vcc_lo, exec_lo, s0
	s_cbranch_vccz .LBB0_9
	s_branch .LBB0_14
.LBB0_8:
                                        ; implicit-def: $vgpr1
                                        ; implicit-def: $vgpr13
                                        ; implicit-def: $vgpr9
                                        ; implicit-def: $vgpr15
                                        ; implicit-def: $vgpr11
                                        ; implicit-def: $vgpr19
                                        ; implicit-def: $vgpr17
                                        ; implicit-def: $vgpr26
                                        ; implicit-def: $vgpr21
                                        ; implicit-def: $vgpr3
                                        ; implicit-def: $vgpr7
                                        ; implicit-def: $vgpr5
                                        ; implicit-def: $vgpr73
                                        ; implicit-def: $vgpr28
                                        ; implicit-def: $vgpr34
                                        ; implicit-def: $vgpr33
.LBB0_9:
	s_mov_b32 s0, exec_lo
                                        ; implicit-def: $vgpr73
                                        ; implicit-def: $vgpr28
                                        ; implicit-def: $vgpr34
                                        ; implicit-def: $vgpr33
	v_cmpx_le_u64_e64 s[10:11], v[24:25]
	s_xor_b32 s0, exec_lo, s0
; %bb.10:
	v_add_nc_u32_e32 v73, 14, v72
	v_add_nc_u32_e32 v28, 28, v72
	;; [unrolled: 1-line block ×4, first 2 shown]
                                        ; implicit-def: $vgpr29
                                        ; implicit-def: $vgpr30
                                        ; implicit-def: $vgpr31
                                        ; implicit-def: $vgpr32
; %bb.11:
	s_or_saveexec_b32 s0, s0
                                        ; implicit-def: $vgpr1
                                        ; implicit-def: $vgpr13
                                        ; implicit-def: $vgpr9
                                        ; implicit-def: $vgpr15
                                        ; implicit-def: $vgpr11
                                        ; implicit-def: $vgpr19
                                        ; implicit-def: $vgpr17
                                        ; implicit-def: $vgpr26
                                        ; implicit-def: $vgpr21
                                        ; implicit-def: $vgpr3
                                        ; implicit-def: $vgpr7
                                        ; implicit-def: $vgpr5
	s_xor_b32 exec_lo, exec_lo, s0
	s_cbranch_execz .LBB0_13
; %bb.12:
	s_waitcnt vmcnt(8)
	v_mad_u64_u32 v[1:2], null, s12, v74, 0
	v_mad_u64_u32 v[3:4], null, s8, v72, 0
	;; [unrolled: 1-line block ×3, first 2 shown]
	s_waitcnt vmcnt(0)
	v_add_nc_u32_e32 v13, 0x54, v72
	v_add_nc_u32_e32 v14, 0x62, v72
	s_lshl_b64 s[16:17], s[2:3], 3
	v_add_nc_u32_e32 v19, 0x70, v72
	v_mad_u64_u32 v[7:8], null, s13, v74, v[2:3]
	v_mad_u64_u32 v[10:11], null, s9, v72, v[4:5]
	;; [unrolled: 1-line block ×4, first 2 shown]
	v_mov_b32_e32 v2, v7
	s_add_u32 s16, s14, s16
	v_mov_b32_e32 v4, v10
	s_addc_u32 s17, s15, s17
	v_mov_b32_e32 v7, v9
	v_lshlrev_b64 v[1:2], 3, v[1:2]
	v_add_nc_u32_e32 v28, 0x8c, v72
	v_lshlrev_b64 v[3:4], 3, v[3:4]
	v_add_nc_u32_e32 v36, 0x46, v72
	v_mad_u64_u32 v[9:10], null, s9, v13, v[7:8]
	v_add_co_u32 v40, vcc_lo, s16, v1
	v_add_co_ci_u32_e32 v41, vcc_lo, s17, v2, vcc_lo
	v_mad_u64_u32 v[1:2], null, s9, v29, v[6:7]
	v_mov_b32_e32 v2, v12
	v_add_co_u32 v3, vcc_lo, v40, v3
	v_lshlrev_b64 v[7:8], 3, v[8:9]
	v_mad_u64_u32 v[9:10], null, s8, v30, 0
	v_mov_b32_e32 v6, v1
	v_mad_u64_u32 v[1:2], null, s9, v14, v[2:3]
	v_mad_u64_u32 v[13:14], null, s8, v19, 0
	v_lshlrev_b64 v[5:6], 3, v[5:6]
	v_add_co_ci_u32_e32 v4, vcc_lo, v41, v4, vcc_lo
	v_add_co_u32 v7, vcc_lo, v40, v7
	v_mov_b32_e32 v12, v1
	v_mov_b32_e32 v1, v10
	v_add_co_ci_u32_e32 v8, vcc_lo, v41, v8, vcc_lo
	v_add_co_u32 v15, vcc_lo, v40, v5
	v_mad_u64_u32 v[1:2], null, s9, v30, v[1:2]
	v_add_co_ci_u32_e32 v16, vcc_lo, v41, v6, vcc_lo
	v_lshlrev_b64 v[5:6], 3, v[11:12]
	v_mov_b32_e32 v2, v14
	v_mad_u64_u32 v[11:12], null, s8, v31, 0
	v_mov_b32_e32 v10, v1
	v_mad_u64_u32 v[26:27], null, s8, v36, 0
	v_mad_u64_u32 v[19:20], null, s9, v19, v[2:3]
	v_add_co_u32 v17, vcc_lo, v40, v5
	v_add_nc_u32_e32 v20, 0x7e, v72
	v_add_co_ci_u32_e32 v18, vcc_lo, v41, v6, vcc_lo
	s_clause 0x3
	global_load_dwordx2 v[5:6], v[3:4], off
	global_load_dwordx2 v[7:8], v[7:8], off
	;; [unrolled: 1-line block ×4, first 2 shown]
	v_mad_u64_u32 v[15:16], null, s9, v31, v[12:13]
	v_mad_u64_u32 v[16:17], null, s8, v20, 0
	v_mov_b32_e32 v14, v19
	v_mad_u64_u32 v[18:19], null, s8, v32, 0
	v_lshlrev_b64 v[9:10], 3, v[9:10]
	v_mov_b32_e32 v12, v15
	v_lshlrev_b64 v[13:14], 3, v[13:14]
	v_mov_b32_e32 v15, v17
	v_mov_b32_e32 v73, v29
	v_add_co_u32 v9, vcc_lo, v40, v9
	v_mad_u64_u32 v[20:21], null, s9, v20, v[15:16]
	v_mad_u64_u32 v[21:22], null, s8, v28, 0
	v_mov_b32_e32 v15, v19
	v_lshlrev_b64 v[11:12], 3, v[11:12]
	v_add_co_ci_u32_e32 v10, vcc_lo, v41, v10, vcc_lo
	v_mov_b32_e32 v17, v20
	v_mad_u64_u32 v[19:20], null, s9, v32, v[15:16]
	v_mov_b32_e32 v15, v22
	v_add_nc_u32_e32 v20, 0x9a, v72
	v_add_co_u32 v13, vcc_lo, v40, v13
	v_add_co_ci_u32_e32 v14, vcc_lo, v41, v14, vcc_lo
	v_mad_u64_u32 v[33:34], null, s9, v28, v[15:16]
	v_lshlrev_b64 v[16:17], 3, v[16:17]
	v_mad_u64_u32 v[34:35], null, s8, v20, 0
	v_mov_b32_e32 v15, v27
	v_add_co_u32 v11, vcc_lo, v40, v11
	v_add_co_ci_u32_e32 v12, vcc_lo, v41, v12, vcc_lo
	v_mad_u64_u32 v[27:28], null, s9, v36, v[15:16]
	v_add_co_u32 v36, vcc_lo, v40, v16
	v_add_co_ci_u32_e32 v37, vcc_lo, v41, v17, vcc_lo
	v_lshlrev_b64 v[16:17], 3, v[18:19]
	v_mov_b32_e32 v15, v35
	v_mov_b32_e32 v22, v33
	;; [unrolled: 1-line block ×3, first 2 shown]
	v_mad_u64_u32 v[18:19], null, s9, v20, v[15:16]
	v_lshlrev_b64 v[19:20], 3, v[21:22]
	v_add_co_u32 v15, vcc_lo, v40, v16
	v_lshlrev_b64 v[21:22], 3, v[26:27]
	v_add_co_ci_u32_e32 v16, vcc_lo, v41, v17, vcc_lo
	v_mov_b32_e32 v35, v18
	v_add_co_u32 v38, vcc_lo, v40, v19
	v_add_co_ci_u32_e32 v39, vcc_lo, v41, v20, vcc_lo
	v_lshlrev_b64 v[17:18], 3, v[34:35]
	v_add_co_u32 v33, vcc_lo, v40, v21
	v_add_co_ci_u32_e32 v34, vcc_lo, v41, v22, vcc_lo
	v_add_co_u32 v40, vcc_lo, v40, v17
	v_add_co_ci_u32_e32 v41, vcc_lo, v41, v18, vcc_lo
	s_clause 0x7
	global_load_dwordx2 v[21:22], v[9:10], off
	global_load_dwordx2 v[26:27], v[13:14], off
	;; [unrolled: 1-line block ×8, first 2 shown]
	v_mov_b32_e32 v34, v31
	v_mov_b32_e32 v33, v32
.LBB0_13:
	s_or_b32 exec_lo, exec_lo, s0
.LBB0_14:
	s_waitcnt vmcnt(2)
	v_sub_f32_e32 v32, v12, v16
	v_mov_b32_e32 v16, 3
	v_sub_f32_e32 v7, v5, v7
	v_sub_f32_e32 v8, v6, v8
	;; [unrolled: 1-line block ×4, first 2 shown]
	v_mul_u32_u24_e32 v1, 0xe0, v72
	v_lshlrev_b32_sdwa v2, v16, v23 dst_sel:DWORD dst_unused:UNUSED_PAD src0_sel:DWORD src1_sel:WORD_0
	v_sub_f32_e32 v31, v11, v15
	v_mul_i32_i24_e32 v15, 0xe0, v73
	v_fma_f32 v5, v5, 2.0, -v7
	v_fma_f32 v6, v6, 2.0, -v8
	v_sub_f32_e32 v26, v21, v26
	v_sub_f32_e32 v27, v22, v27
	v_add3_u32 v1, 0, v1, v2
	v_mul_i32_i24_e32 v23, 0xe0, v28
	v_fma_f32 v3, v3, 2.0, -v29
	v_fma_f32 v4, v4, 2.0, -v30
	v_sub_f32_e32 v19, v17, v19
	v_sub_f32_e32 v20, v18, v20
	v_add3_u32 v15, 0, v15, v2
	v_mul_i32_i24_e32 v35, 0xe0, v34
	v_mul_i32_i24_e32 v36, 0xe0, v33
	v_fma_f32 v21, v21, 2.0, -v26
	v_fma_f32 v22, v22, 2.0, -v27
	s_waitcnt vmcnt(0)
	v_sub_f32_e32 v13, v9, v13
	v_sub_f32_e32 v14, v10, v14
	ds_write2_b64 v1, v[5:6], v[7:8] offset1:14
	ds_write2_b64 v15, v[3:4], v[29:30] offset1:14
	v_add3_u32 v3, 0, v23, v2
	v_and_b32_e32 v23, 1, v72
	v_fma_f32 v17, v17, 2.0, -v19
	v_fma_f32 v18, v18, 2.0, -v20
	v_add3_u32 v4, 0, v35, v2
	v_fma_f32 v11, v11, 2.0, -v31
	v_fma_f32 v12, v12, 2.0, -v32
	v_add3_u32 v15, 0, v36, v2
	v_fma_f32 v9, v9, 2.0, -v13
	v_fma_f32 v10, v10, 2.0, -v14
	v_add_nc_u32_e32 v1, 0x3800, v1
	ds_write2_b64 v3, v[21:22], v[26:27] offset1:14
	ds_write2_b64 v4, v[17:18], v[19:20] offset1:14
	;; [unrolled: 1-line block ×3, first 2 shown]
	v_lshlrev_b32_e32 v3, 4, v23
	v_lshrrev_b32_e32 v11, 1, v73
	v_lshrrev_b32_e32 v12, 1, v28
	ds_write2_b64 v1, v[9:10], v[13:14] offset0:168 offset1:182
	s_waitcnt lgkmcnt(0)
	s_barrier
	buffer_gl0_inv
	global_load_dwordx4 v[5:8], v3, s[6:7]
	v_lshrrev_b32_e32 v13, 1, v34
	v_lshrrev_b32_e32 v1, 1, v72
	v_mul_lo_u16 v14, v72, 43
	v_mul_u32_u24_e32 v3, 0x70, v72
	v_mul_lo_u32 v11, v11, 6
	v_mul_lo_u32 v12, v12, 6
	;; [unrolled: 1-line block ×3, first 2 shown]
	v_mul_i32_i24_e32 v9, 0x70, v28
	v_mul_i32_i24_e32 v10, 0x70, v34
	v_and_b32_e32 v18, 0xff, v28
	v_mul_u32_u24_e32 v19, 6, v1
	v_lshrrev_b16 v39, 8, v14
	v_and_b32_e32 v17, 0xff, v73
	v_add3_u32 v3, 0, v3, v2
	v_mul_i32_i24_e32 v4, 0x70, v73
	v_mul_lo_u16 v14, 0xab, v18
	v_add3_u32 v50, 0, v9, v2
	v_add3_u32 v40, 0, v10, v2
	v_or_b32_e32 v9, v19, v23
	v_mul_lo_u16 v10, v39, 6
	v_or_b32_e32 v11, v11, v23
	v_or_b32_e32 v12, v12, v23
	v_or_b32_e32 v13, v13, v23
	v_mad_i32_i24 v15, 0xffffff90, v33, v15
	v_mul_lo_u16 v1, 0xab, v17
	v_add_nc_u32_e32 v17, 0x2a00, v3
	v_add_nc_u32_e32 v18, 0x1e00, v3
	;; [unrolled: 1-line block ×3, first 2 shown]
	v_add3_u32 v4, 0, v4, v2
	v_lshrrev_b16 v44, 10, v14
	v_mul_u32_u24_e32 v42, 0x70, v9
	v_sub_nc_u16 v45, v72, v10
	v_mul_lo_u32 v47, 0x70, v11
	v_mul_lo_u32 v48, 0x70, v12
	;; [unrolled: 1-line block ×3, first 2 shown]
	ds_read_b64 v[13:14], v3
	ds_read_b64 v[21:22], v15
	ds_read2_b64 v[9:12], v17 offset0:28 offset1:224
	ds_read2_b64 v[17:20], v18 offset0:20 offset1:216
	;; [unrolled: 1-line block ×3, first 2 shown]
	ds_read_b64 v[26:27], v50
	ds_read_b64 v[33:34], v40
	;; [unrolled: 1-line block ×3, first 2 shown]
	ds_read_b64 v[37:38], v3 offset:17248
	v_mul_lo_u16 v46, v44, 6
	v_lshrrev_b16 v41, 10, v1
	v_add3_u32 v42, 0, v42, v2
	v_mul_u32_u24_sdwa v15, v45, v16 dst_sel:DWORD dst_unused:UNUSED_PAD src0_sel:BYTE_0 src1_sel:DWORD
	v_add3_u32 v47, 0, v47, v2
	v_sub_nc_u16 v46, v28, v46
	v_mul_lo_u16 v43, v41, 6
	v_add3_u32 v48, 0, v48, v2
	s_waitcnt vmcnt(0) lgkmcnt(0)
	s_barrier
	buffer_gl0_inv
	v_sub_nc_u16 v23, v73, v43
	v_add3_u32 v49, 0, v49, v2
	v_lshlrev_b32_e32 v15, 3, v15
	v_cmp_gt_u32_e64 s0, 0x8c, v0
	s_mov_b32 s16, 0
	v_mul_u32_u24_sdwa v43, v23, v16 dst_sel:DWORD dst_unused:UNUSED_PAD src0_sel:BYTE_0 src1_sel:DWORD
	v_mul_f32_e32 v28, v6, v22
	v_mul_f32_e32 v51, v6, v21
	;; [unrolled: 1-line block ×16, first 2 shown]
	v_fmac_f32_e32 v57, v5, v19
	v_fmac_f32_e32 v28, v5, v21
	v_fma_f32 v19, v5, v22, -v51
	v_fmac_f32_e32 v52, v7, v11
	v_fma_f32 v11, v7, v12, -v53
	;; [unrolled: 2-line block ×4, first 2 shown]
	v_fma_f32 v18, v5, v20, -v58
	v_fmac_f32_e32 v60, v7, v31
	v_fma_f32 v20, v7, v32, -v61
	v_fmac_f32_e32 v62, v5, v9
	;; [unrolled: 2-line block ×3, first 2 shown]
	v_fma_f32 v21, v38, v7, -v8
	v_add_f32_e32 v7, v28, v52
	v_add_f32_e32 v9, v19, v11
	;; [unrolled: 1-line block ×3, first 2 shown]
	v_sub_f32_e32 v22, v19, v11
	v_add_f32_e32 v8, v14, v19
	v_sub_f32_e32 v19, v28, v52
	v_add_f32_e32 v28, v54, v56
	;; [unrolled: 2-line block ×3, first 2 shown]
	v_add_f32_e32 v17, v17, v12
	v_add_f32_e32 v37, v57, v60
	v_sub_f32_e32 v38, v18, v20
	v_add_f32_e32 v51, v27, v18
	v_add_f32_e32 v18, v18, v20
	;; [unrolled: 1-line block ×4, first 2 shown]
	v_fma_f32 v13, -0.5, v7, v13
	v_fmac_f32_e32 v14, -0.5, v9
	v_add_f32_e32 v10, v35, v54
	v_sub_f32_e32 v31, v54, v56
	v_fma_f32 v35, -0.5, v28, v35
	v_fmac_f32_e32 v36, -0.5, v17
	v_add_f32_e32 v32, v26, v57
	v_sub_f32_e32 v53, v57, v60
	v_add_f32_e32 v58, v34, v5
	v_fma_f32 v26, -0.5, v37, v26
	v_fmac_f32_e32 v27, -0.5, v18
	v_add_f32_e32 v54, v33, v62
	v_sub_f32_e32 v57, v5, v21
	v_sub_f32_e32 v61, v62, v63
	v_add_f32_e32 v5, v6, v52
	v_add_f32_e32 v6, v8, v11
	v_fma_f32 v33, -0.5, v55, v33
	v_fmac_f32_e32 v34, -0.5, v59
	v_fmamk_f32 v17, v22, 0xbf5db3d7, v13
	v_fmamk_f32 v18, v19, 0x3f5db3d7, v14
	v_fmac_f32_e32 v13, 0x3f5db3d7, v22
	v_fmac_f32_e32 v14, 0xbf5db3d7, v19
	v_add_f32_e32 v7, v10, v56
	v_add_f32_e32 v8, v30, v12
	;; [unrolled: 1-line block ×3, first 2 shown]
	v_fmamk_f32 v19, v29, 0xbf5db3d7, v35
	v_fmamk_f32 v20, v31, 0x3f5db3d7, v36
	v_fmac_f32_e32 v35, 0x3f5db3d7, v29
	v_fmac_f32_e32 v36, 0xbf5db3d7, v31
	v_add_f32_e32 v9, v32, v60
	v_add_f32_e32 v12, v58, v21
	v_fmamk_f32 v21, v38, 0xbf5db3d7, v26
	v_fmamk_f32 v22, v53, 0x3f5db3d7, v27
	v_add_f32_e32 v11, v54, v63
	v_fmac_f32_e32 v26, 0x3f5db3d7, v38
	v_fmac_f32_e32 v27, 0xbf5db3d7, v53
	v_fmamk_f32 v28, v57, 0xbf5db3d7, v33
	v_fmac_f32_e32 v33, 0x3f5db3d7, v57
	v_fmamk_f32 v29, v61, 0x3f5db3d7, v34
	v_fmac_f32_e32 v34, 0xbf5db3d7, v61
	ds_write2_b64 v42, v[5:6], v[17:18] offset1:28
	ds_write_b64 v42, v[13:14] offset:448
	ds_write2_b64 v47, v[7:8], v[19:20] offset1:28
	ds_write_b64 v47, v[35:36] offset:448
	ds_write2_b64 v48, v[9:10], v[21:22] offset1:28
	ds_write_b64 v48, v[26:27] offset:448
	ds_write2_b64 v49, v[11:12], v[28:29] offset1:28
	ds_write_b64 v49, v[33:34] offset:448
	v_mul_u32_u24_sdwa v17, v46, v16 dst_sel:DWORD dst_unused:UNUSED_PAD src0_sel:BYTE_0 src1_sel:DWORD
	v_lshlrev_b32_e32 v5, 3, v43
	s_waitcnt lgkmcnt(0)
	s_barrier
	buffer_gl0_inv
	v_lshlrev_b32_e32 v26, 3, v17
	s_clause 0x5
	global_load_dwordx4 v[6:9], v15, s[6:7] offset:32
	global_load_dwordx2 v[14:15], v15, s[6:7] offset:48
	global_load_dwordx4 v[10:13], v5, s[6:7] offset:32
	global_load_dwordx2 v[21:22], v5, s[6:7] offset:48
	;; [unrolled: 2-line block ×3, first 2 shown]
	v_mov_b32_e32 v5, 24
	v_add_nc_u32_e32 v27, 0x2400, v3
	v_add_nc_u32_e32 v30, 0x3000, v3
	;; [unrolled: 1-line block ×3, first 2 shown]
	v_mul_u32_u24_sdwa v26, v39, v5 dst_sel:DWORD dst_unused:UNUSED_PAD src0_sel:WORD_0 src1_sel:DWORD
	v_mul_u32_u24_sdwa v31, v44, v5 dst_sel:DWORD dst_unused:UNUSED_PAD src0_sel:WORD_0 src1_sel:DWORD
	;; [unrolled: 1-line block ×3, first 2 shown]
	v_add_nc_u32_e32 v5, 0x1800, v3
	v_or_b32_sdwa v34, v26, v45 dst_sel:DWORD dst_unused:UNUSED_PAD src0_sel:DWORD src1_sel:BYTE_0
	v_or_b32_sdwa v39, v31, v46 dst_sel:DWORD dst_unused:UNUSED_PAD src0_sel:DWORD src1_sel:BYTE_0
	ds_read_b64 v[44:45], v40
	v_or_b32_sdwa v23, v28, v23 dst_sel:DWORD dst_unused:UNUSED_PAD src0_sel:DWORD src1_sel:BYTE_0
	ds_read2_b64 v[26:29], v27 offset0:24 offset1:220
	ds_read2_b64 v[30:33], v30 offset0:32 offset1:228
	v_mul_u32_u24_e32 v46, 0x70, v34
	ds_read2_b64 v[34:37], v5 offset0:16 offset1:212
	v_mul_u32_u24_e32 v47, 0x70, v39
	;; [unrolled: 2-line block ×3, first 2 shown]
	v_add3_u32 v52, 0, v46, v2
	v_add3_u32 v23, 0, v23, v2
	;; [unrolled: 1-line block ×3, first 2 shown]
	ds_read_b64 v[46:47], v3
	ds_read_b64 v[48:49], v4
	;; [unrolled: 1-line block ×3, first 2 shown]
	s_waitcnt vmcnt(0) lgkmcnt(0)
	s_barrier
	buffer_gl0_inv
	v_mul_f32_e32 v53, v7, v45
	v_mul_f32_e32 v7, v7, v44
	;; [unrolled: 1-line block ×18, first 2 shown]
	v_fmac_f32_e32 v53, v6, v44
	v_fma_f32 v6, v6, v45, -v7
	v_fmac_f32_e32 v54, v8, v26
	v_fma_f32 v7, v8, v27, -v9
	;; [unrolled: 2-line block ×9, first 2 shown]
	v_sub_f32_e32 v15, v46, v54
	v_sub_f32_e32 v17, v47, v7
	;; [unrolled: 1-line block ×12, first 2 shown]
	v_fma_f32 v22, v46, 2.0, -v15
	v_fma_f32 v34, v47, 2.0, -v17
	;; [unrolled: 1-line block ×12, first 2 shown]
	v_add_f32_e32 v6, v15, v9
	v_sub_f32_e32 v7, v17, v7
	v_add_f32_e32 v26, v18, v11
	v_sub_f32_e32 v27, v19, v8
	v_sub_f32_e32 v8, v22, v30
	;; [unrolled: 1-line block ×3, first 2 shown]
	v_add_f32_e32 v28, v20, v14
	v_sub_f32_e32 v29, v21, v13
	v_sub_f32_e32 v12, v35, v32
	;; [unrolled: 1-line block ×5, first 2 shown]
	v_fma_f32 v10, v15, 2.0, -v6
	v_fma_f32 v11, v17, 2.0, -v7
	v_fma_f32 v14, v18, 2.0, -v26
	v_fma_f32 v17, v22, 2.0, -v8
	v_fma_f32 v18, v34, 2.0, -v9
	v_fma_f32 v15, v19, 2.0, -v27
	v_fma_f32 v32, v20, 2.0, -v28
	v_fma_f32 v19, v35, 2.0, -v12
	v_fma_f32 v20, v36, 2.0, -v13
	v_fma_f32 v33, v21, 2.0, -v29
	v_fma_f32 v34, v37, 2.0, -v30
	v_fma_f32 v35, v38, 2.0, -v31
	ds_write2_b64 v52, v[8:9], v[6:7] offset0:168 offset1:252
	ds_write2_b64 v52, v[17:18], v[10:11] offset1:84
	ds_write2_b64 v23, v[19:20], v[14:15] offset1:84
	ds_write2_b64 v23, v[12:13], v[26:27] offset0:168 offset1:252
	ds_write2_b64 v2, v[34:35], v[32:33] offset1:84
	ds_write2_b64 v2, v[30:31], v[28:29] offset0:168 offset1:252
	s_waitcnt lgkmcnt(0)
	s_barrier
	buffer_gl0_inv
	ds_read_b64 v[40:41], v3
	ds_read_b64 v[50:51], v3 offset:2688
	ds_read_b64 v[48:49], v3 offset:5376
	ds_read_b64 v[46:47], v3 offset:8064
	ds_read_b64 v[44:45], v3 offset:10752
	ds_read_b64 v[42:43], v3 offset:13440
	ds_read_b64 v[54:55], v3 offset:16128
                                        ; implicit-def: $vgpr39
                                        ; implicit-def: $vgpr37
	s_and_saveexec_b32 s17, s0
	s_cbranch_execz .LBB0_16
; %bb.15:
	ds_read2_b32 v[32:33], v5 offset0:200 offset1:201
	ds_read_b64 v[34:35], v3 offset:4256
	ds_read_b64 v[30:31], v3 offset:9632
	;; [unrolled: 1-line block ×4, first 2 shown]
	ds_read_b64 v[26:27], v4
	ds_read_b64 v[38:39], v3 offset:17696
.LBB0_16:
	s_or_b32 exec_lo, exec_lo, s17
	v_mul_lo_u16 v0, v72, 11
	s_load_dwordx2 s[4:5], s[4:5], 0x8
	s_andn2_b32 vcc_lo, exec_lo, s1
	v_lshrrev_b16 v0, 8, v0
	v_mul_lo_u16 v0, v0, 24
	v_sub_nc_u16 v0, v72, v0
	v_and_b32_e32 v75, 0xff, v0
	v_mul_u32_u24_e32 v0, 6, v75
	v_add_nc_u32_e32 v77, 24, v75
	v_add_nc_u32_e32 v79, 48, v75
	;; [unrolled: 1-line block ×4, first 2 shown]
	v_lshlrev_b32_e32 v0, 3, v0
	v_add_nc_u32_e32 v78, 0x90, v75
	v_mul_lo_u32 v3, v24, v79
	v_mul_lo_u32 v4, v24, v80
	;; [unrolled: 1-line block ×3, first 2 shown]
	s_clause 0x2
	global_load_dwordx4 v[20:23], v0, s[6:7] offset:176
	global_load_dwordx4 v[12:15], v0, s[6:7] offset:192
	;; [unrolled: 1-line block ×3, first 2 shown]
	v_mul_lo_u32 v0, v24, v75
	v_mul_lo_u32 v7, v24, v78
	v_bfe_u32 v17, v3, 8, 8
	v_bfe_u32 v18, v4, 8, 8
	v_lshlrev_b32_sdwa v3, v16, v3 dst_sel:DWORD dst_unused:UNUSED_PAD src0_sel:DWORD src1_sel:BYTE_0
	v_lshlrev_b32_sdwa v4, v16, v4 dst_sel:DWORD dst_unused:UNUSED_PAD src0_sel:DWORD src1_sel:BYTE_0
	v_bfe_u32 v2, v0, 8, 8
	v_lshlrev_b32_sdwa v0, v16, v0 dst_sel:DWORD dst_unused:UNUSED_PAD src0_sel:DWORD src1_sel:BYTE_0
	v_lshl_or_b32 v17, v17, 3, 0x800
	v_bfe_u32 v19, v7, 8, 8
	v_lshl_or_b32 v18, v18, 3, 0x800
	v_lshl_or_b32 v2, v2, 3, 0x800
	v_lshlrev_b32_sdwa v7, v16, v7 dst_sel:DWORD dst_unused:UNUSED_PAD src0_sel:DWORD src1_sel:BYTE_0
	s_waitcnt lgkmcnt(0)
	s_clause 0x1
	global_load_dwordx2 v[56:57], v0, s[4:5]
	global_load_dwordx2 v[58:59], v2, s[4:5]
	v_mul_lo_u32 v0, v24, v77
	v_or_b32_e32 v2, 0x60, v75
	v_mul_lo_u32 v2, v24, v2
	v_bfe_u32 v5, v0, 8, 8
	v_lshlrev_b32_sdwa v0, v16, v0 dst_sel:DWORD dst_unused:UNUSED_PAD src0_sel:DWORD src1_sel:BYTE_0
	v_lshl_or_b32 v5, v5, 3, 0x800
	s_clause 0x1
	global_load_dwordx2 v[60:61], v0, s[4:5]
	global_load_dwordx2 v[62:63], v5, s[4:5]
	v_bfe_u32 v0, v2, 8, 8
	v_bfe_u32 v5, v6, 8, 8
	v_lshlrev_b32_sdwa v2, v16, v2 dst_sel:DWORD dst_unused:UNUSED_PAD src0_sel:DWORD src1_sel:BYTE_0
	v_lshlrev_b32_sdwa v6, v16, v6 dst_sel:DWORD dst_unused:UNUSED_PAD src0_sel:DWORD src1_sel:BYTE_0
	s_clause 0x1
	global_load_dwordx2 v[64:65], v3, s[4:5]
	global_load_dwordx2 v[66:67], v17, s[4:5]
	v_lshl_or_b32 v0, v0, 3, 0x800
	v_lshl_or_b32 v3, v5, 3, 0x800
	s_clause 0x1
	global_load_dwordx2 v[68:69], v4, s[4:5]
	global_load_dwordx2 v[70:71], v18, s[4:5]
	v_lshl_or_b32 v4, v19, 3, 0x800
	s_clause 0x5
	global_load_dwordx2 v[81:82], v2, s[4:5]
	global_load_dwordx2 v[83:84], v0, s[4:5]
	global_load_dwordx2 v[85:86], v6, s[4:5]
	global_load_dwordx2 v[87:88], v3, s[4:5]
	global_load_dwordx2 v[89:90], v7, s[4:5]
	global_load_dwordx2 v[91:92], v4, s[4:5]
	v_lshrrev_b16 v0, 12, v1
	v_mul_lo_u16 v0, v0, 24
	v_sub_nc_u16 v0, v73, v0
	v_and_b32_e32 v0, 0xff, v0
	v_add_nc_u32_e32 v3, 24, v0
	v_add_nc_u32_e32 v4, 48, v0
	;; [unrolled: 1-line block ×3, first 2 shown]
	v_or_b32_e32 v6, 0x60, v0
	v_add_nc_u32_e32 v7, 0x78, v0
	v_mul_lo_u32 v18, v24, v3
	v_mul_lo_u32 v19, v24, v4
	v_mul_u32_u24_e32 v1, 6, v0
	v_mul_lo_u32 v2, v24, v0
	v_add_nc_u32_e32 v0, 0x90, v0
	v_mul_lo_u32 v52, v24, v5
	v_mul_lo_u32 v53, v24, v6
	;; [unrolled: 1-line block ×3, first 2 shown]
	v_bfe_u32 v98, v18, 8, 8
	v_mul_lo_u32 v95, v24, v0
	v_bfe_u32 v100, v19, 8, 8
	v_lshlrev_b32_e32 v17, 3, v1
	v_lshlrev_b32_sdwa v97, v16, v18 dst_sel:DWORD dst_unused:UNUSED_PAD src0_sel:DWORD src1_sel:BYTE_0
	v_lshlrev_b32_sdwa v101, v16, v52 dst_sel:DWORD dst_unused:UNUSED_PAD src0_sel:DWORD src1_sel:BYTE_0
	v_bfe_u32 v52, v52, 8, 8
	v_lshlrev_b32_sdwa v102, v16, v53 dst_sel:DWORD dst_unused:UNUSED_PAD src0_sel:DWORD src1_sel:BYTE_0
	v_bfe_u32 v53, v53, 8, 8
	v_lshl_or_b32 v98, v98, 3, 0x800
	v_lshlrev_b32_sdwa v99, v16, v19 dst_sel:DWORD dst_unused:UNUSED_PAD src0_sel:DWORD src1_sel:BYTE_0
	v_lshl_or_b32 v100, v100, 3, 0x800
	v_lshlrev_b32_sdwa v103, v16, v93 dst_sel:DWORD dst_unused:UNUSED_PAD src0_sel:DWORD src1_sel:BYTE_0
	v_bfe_u32 v93, v93, 8, 8
	v_bfe_u32 v94, v2, 8, 8
	v_lshlrev_b32_sdwa v96, v16, v2 dst_sel:DWORD dst_unused:UNUSED_PAD src0_sel:DWORD src1_sel:BYTE_0
	s_clause 0x1
	global_load_dwordx4 v[0:3], v17, s[6:7] offset:208
	global_load_dwordx4 v[4:7], v17, s[6:7] offset:192
	v_lshlrev_b32_sdwa v104, v16, v95 dst_sel:DWORD dst_unused:UNUSED_PAD src0_sel:DWORD src1_sel:BYTE_0
	global_load_dwordx4 v[16:19], v17, s[6:7] offset:176
	v_lshl_or_b32 v106, v52, 3, 0x800
	v_bfe_u32 v95, v95, 8, 8
	v_lshl_or_b32 v93, v93, 3, 0x800
	v_lshl_or_b32 v94, v94, 3, 0x800
	;; [unrolled: 1-line block ×3, first 2 shown]
	s_waitcnt vmcnt(19)
	v_mul_f32_e32 v105, v21, v51
	v_mul_f32_e32 v21, v21, v50
	;; [unrolled: 1-line block ×3, first 2 shown]
	s_waitcnt vmcnt(18)
	v_mul_f32_e32 v110, v13, v47
	v_mul_f32_e32 v13, v13, v46
	v_fmac_f32_e32 v105, v20, v50
	v_fma_f32 v107, v20, v51, -v21
	v_mul_f32_e32 v20, v23, v48
	v_lshl_or_b32 v23, v53, 3, 0x800
	v_fmac_f32_e32 v108, v22, v48
	v_fmac_f32_e32 v110, v12, v46
	v_fma_f32 v113, v12, v47, -v13
	v_fma_f32 v109, v22, v49, -v20
	s_clause 0x3
	global_load_dwordx2 v[50:51], v97, s[4:5]
	global_load_dwordx2 v[52:53], v98, s[4:5]
	;; [unrolled: 1-line block ×4, first 2 shown]
	s_waitcnt vmcnt(21)
	v_mul_f32_e32 v97, v11, v55
	v_mul_f32_e32 v111, v15, v45
	v_mul_f32_e32 v15, v15, v44
	v_mul_f32_e32 v112, v9, v43
	v_mul_f32_e32 v9, v9, v42
	v_mul_f32_e32 v11, v11, v54
	v_fmac_f32_e32 v97, v10, v54
	s_waitcnt vmcnt(19)
	v_mul_f32_e32 v54, v57, v59
	v_mul_f32_e32 v59, v56, v59
	v_fmac_f32_e32 v111, v14, v44
	v_fma_f32 v114, v14, v45, -v15
	v_fmac_f32_e32 v112, v8, v42
	v_fma_f32 v98, v8, v43, -v9
	s_clause 0x3
	global_load_dwordx2 v[42:43], v101, s[4:5]
	global_load_dwordx2 v[44:45], v106, s[4:5]
	global_load_dwordx2 v[20:21], v102, s[4:5]
	global_load_dwordx2 v[22:23], v23, s[4:5]
	v_fma_f32 v99, v10, v55, -v11
	s_clause 0x3
	global_load_dwordx2 v[12:13], v103, s[4:5]
	global_load_dwordx2 v[14:15], v93, s[4:5]
	;; [unrolled: 1-line block ×4, first 2 shown]
	v_fma_f32 v93, v56, v58, -v54
	v_fmac_f32_e32 v59, v57, v58
	s_clause 0x1
	global_load_dwordx2 v[54:55], v96, s[4:5]
	global_load_dwordx2 v[56:57], v94, s[4:5]
	v_add_f32_e32 v58, v105, v97
	v_add_f32_e32 v94, v107, v99
	v_sub_f32_e32 v95, v105, v97
	v_sub_f32_e32 v96, v107, v99
	v_add_f32_e32 v97, v108, v112
	v_add_f32_e32 v99, v109, v98
	s_waitcnt vmcnt(27)
	v_mul_f32_e32 v101, v61, v63
	v_mul_f32_e32 v63, v60, v63
	v_sub_f32_e32 v100, v108, v112
	v_sub_f32_e32 v98, v109, v98
	s_waitcnt vmcnt(25)
	v_mul_f32_e32 v102, v65, v67
	v_mul_f32_e32 v67, v64, v67
	v_fma_f32 v101, v60, v62, -v101
	s_waitcnt vmcnt(23)
	v_mul_f32_e32 v104, v69, v71
	v_mul_f32_e32 v71, v68, v71
	v_fmac_f32_e32 v63, v61, v62
	v_add_f32_e32 v60, v110, v111
	v_add_f32_e32 v61, v113, v114
	v_sub_f32_e32 v62, v111, v110
	v_sub_f32_e32 v103, v114, v113
	v_fma_f32 v102, v64, v66, -v102
	v_fmac_f32_e32 v67, v65, v66
	s_waitcnt vmcnt(21)
	v_mul_f32_e32 v64, v82, v84
	v_mul_f32_e32 v65, v81, v84
	s_waitcnt vmcnt(19)
	v_mul_f32_e32 v66, v86, v88
	v_mul_f32_e32 v84, v85, v88
	v_fma_f32 v88, v68, v70, -v104
	v_fmac_f32_e32 v71, v69, v70
	v_add_f32_e32 v69, v97, v58
	v_add_f32_e32 v70, v99, v94
	s_waitcnt vmcnt(17)
	v_mul_f32_e32 v68, v90, v92
	v_mul_f32_e32 v92, v89, v92
	v_fma_f32 v81, v81, v83, -v64
	v_fmac_f32_e32 v65, v82, v83
	v_sub_f32_e32 v64, v97, v58
	v_sub_f32_e32 v82, v99, v94
	;; [unrolled: 1-line block ×6, first 2 shown]
	v_add_f32_e32 v99, v62, v100
	v_add_f32_e32 v104, v103, v98
	v_fma_f32 v85, v85, v87, -v66
	v_fmac_f32_e32 v84, v86, v87
	v_sub_f32_e32 v66, v62, v100
	v_sub_f32_e32 v86, v103, v98
	;; [unrolled: 1-line block ×4, first 2 shown]
	v_add_f32_e32 v60, v60, v69
	v_add_f32_e32 v61, v61, v70
	v_sub_f32_e32 v62, v95, v62
	v_sub_f32_e32 v87, v96, v103
	v_fma_f32 v89, v89, v91, -v68
	v_fmac_f32_e32 v92, v90, v91
	v_add_f32_e32 v68, v99, v95
	v_mul_f32_e32 v58, 0x3f4a47b2, v58
	v_mul_f32_e32 v70, 0x3f4a47b2, v83
	;; [unrolled: 1-line block ×8, first 2 shown]
	v_add_f32_e32 v40, v60, v40
	v_add_f32_e32 v41, v61, v41
	;; [unrolled: 1-line block ×3, first 2 shown]
	v_fmamk_f32 v94, v94, 0x3d64c772, v58
	v_fma_f32 v83, 0x3f3bfb3b, v64, -v83
	v_fma_f32 v58, 0xbf3bfb3b, v64, -v58
	v_fmamk_f32 v64, v97, 0x3d64c772, v70
	v_fma_f32 v90, 0x3f3bfb3b, v82, -v90
	v_fma_f32 v70, 0xbf3bfb3b, v82, -v70
	v_fma_f32 v82, 0xbf5ff5aa, v100, -v66
	v_fmamk_f32 v66, v62, 0xbeae86e6, v66
	v_fma_f32 v62, 0x3eae86e6, v62, -v91
	v_fma_f32 v91, 0xbf5ff5aa, v98, -v86
	v_fmamk_f32 v86, v87, 0xbeae86e6, v86
	v_fma_f32 v87, 0x3eae86e6, v87, -v95
	v_fmamk_f32 v60, v60, 0xbf955555, v40
	v_fmamk_f32 v61, v61, 0xbf955555, v41
	v_fmac_f32_e32 v66, 0xbee1c552, v68
	v_fmac_f32_e32 v82, 0xbee1c552, v68
	;; [unrolled: 1-line block ×6, first 2 shown]
	v_mul_f32_e32 v68, v41, v59
	v_mul_f32_e32 v59, v40, v59
	v_add_f32_e32 v94, v94, v60
	v_add_f32_e32 v83, v83, v60
	;; [unrolled: 1-line block ×6, first 2 shown]
	v_fmac_f32_e32 v68, v40, v93
	v_fma_f32 v69, v41, v93, -v59
	v_add_f32_e32 v40, v86, v94
	v_sub_f32_e32 v41, v60, v66
	v_sub_f32_e32 v59, v83, v91
	v_add_f32_e32 v83, v91, v83
	v_add_f32_e32 v90, v82, v64
	v_sub_f32_e32 v82, v64, v82
	v_add_f32_e32 v91, v87, v58
	v_sub_f32_e32 v87, v58, v87
	v_sub_f32_e32 v93, v61, v62
	v_add_f32_e32 v61, v62, v61
	v_sub_f32_e32 v86, v94, v86
	v_add_f32_e32 v94, v66, v60
	v_mul_f32_e32 v95, v40, v63
	v_mul_f32_e32 v70, v41, v63
	;; [unrolled: 1-line block ×12, first 2 shown]
	v_fma_f32 v71, v41, v101, -v95
	v_fmac_f32_e32 v70, v40, v101
	v_fmac_f32_e32 v66, v91, v102
	v_fma_f32 v67, v93, v102, -v63
	v_fmac_f32_e32 v64, v59, v88
	v_fma_f32 v65, v90, v88, -v96
	;; [unrolled: 2-line block ×5, first 2 shown]
	s_cbranch_vccnz .LBB0_18
; %bb.17:
	v_mad_u64_u32 v[40:41], null, s12, v74, 0
	v_mad_u64_u32 v[81:82], null, s8, v75, 0
	;; [unrolled: 1-line block ×3, first 2 shown]
	s_lshl_b64 s[4:5], s[2:3], 3
	v_add_nc_u32_e32 v91, 0x60, v75
	s_waitcnt vmcnt(9)
	v_mad_u64_u32 v[85:86], null, s13, v74, v[41:42]
	v_mad_u64_u32 v[86:87], null, s8, v79, 0
	v_mad_u64_u32 v[88:89], null, s9, v75, v[82:83]
	s_add_u32 s1, s14, s4
	s_addc_u32 s4, s15, s5
	v_mov_b32_e32 v41, v85
	s_and_b32 s16, s0, exec_lo
	v_mov_b32_e32 v85, v87
	v_mov_b32_e32 v82, v88
	v_lshlrev_b64 v[40:41], 3, v[40:41]
	v_mad_u64_u32 v[87:88], null, s9, v77, v[84:85]
	v_lshlrev_b64 v[81:82], 3, v[81:82]
	v_mad_u64_u32 v[88:89], null, s9, v79, v[85:86]
	v_add_co_u32 v40, vcc_lo, s1, v40
	v_add_co_ci_u32_e32 v41, vcc_lo, s4, v41, vcc_lo
	v_mov_b32_e32 v84, v87
	v_add_co_u32 v81, vcc_lo, v40, v81
	v_add_co_ci_u32_e32 v82, vcc_lo, v41, v82, vcc_lo
	v_lshlrev_b64 v[83:84], 3, v[83:84]
	v_mov_b32_e32 v87, v88
	v_mad_u64_u32 v[89:90], null, s8, v80, 0
	global_store_dwordx2 v[81:82], v[68:69], off
	v_add_co_u32 v81, vcc_lo, v40, v83
	v_add_co_ci_u32_e32 v82, vcc_lo, v41, v84, vcc_lo
	v_lshlrev_b64 v[83:84], 3, v[86:87]
	v_mad_u64_u32 v[85:86], null, s8, v91, 0
	global_store_dwordx2 v[81:82], v[70:71], off
	v_mov_b32_e32 v81, v90
	v_add_co_u32 v82, vcc_lo, v40, v83
	v_add_co_ci_u32_e32 v83, vcc_lo, v41, v84, vcc_lo
	v_mov_b32_e32 v84, v86
	v_mad_u64_u32 v[86:87], null, s9, v80, v[81:82]
	v_mad_u64_u32 v[87:88], null, s8, v76, 0
	v_mad_u64_u32 v[91:92], null, s9, v91, v[84:85]
	v_mad_u64_u32 v[92:93], null, s8, v78, 0
	v_mov_b32_e32 v90, v86
	global_store_dwordx2 v[82:83], v[66:67], off
	v_mov_b32_e32 v81, v88
	v_mov_b32_e32 v86, v91
	v_lshlrev_b64 v[82:83], 3, v[89:90]
	v_mov_b32_e32 v84, v93
	v_lshlrev_b64 v[85:86], 3, v[85:86]
	v_mad_u64_u32 v[88:89], null, s9, v76, v[81:82]
	v_add_co_u32 v81, vcc_lo, v40, v82
	v_mad_u64_u32 v[89:90], null, s9, v78, v[84:85]
	v_add_co_ci_u32_e32 v82, vcc_lo, v41, v83, vcc_lo
	v_add_co_u32 v83, vcc_lo, v40, v85
	v_add_co_ci_u32_e32 v84, vcc_lo, v41, v86, vcc_lo
	v_mov_b32_e32 v93, v89
	global_store_dwordx2 v[81:82], v[64:65], off
	v_lshlrev_b64 v[81:82], 3, v[87:88]
	global_store_dwordx2 v[83:84], v[62:63], off
	v_lshlrev_b64 v[83:84], 3, v[92:93]
	v_add_co_u32 v81, vcc_lo, v40, v81
	v_add_co_ci_u32_e32 v82, vcc_lo, v41, v82, vcc_lo
	v_add_co_u32 v83, vcc_lo, v40, v83
	v_add_co_ci_u32_e32 v84, vcc_lo, v41, v84, vcc_lo
	global_store_dwordx2 v[81:82], v[60:61], off
	global_store_dwordx2 v[83:84], v[58:59], off
	s_cbranch_execz .LBB0_19
	s_branch .LBB0_22
.LBB0_18:
                                        ; implicit-def: $vgpr40_vgpr41
.LBB0_19:
	s_mov_b32 s1, exec_lo
                                        ; implicit-def: $vgpr40_vgpr41
	v_cmpx_gt_u64_e64 s[10:11], v[24:25]
	s_cbranch_execz .LBB0_21
; %bb.20:
	v_mad_u64_u32 v[24:25], null, s12, v74, 0
	v_mad_u64_u32 v[40:41], null, s8, v75, 0
	;; [unrolled: 1-line block ×3, first 2 shown]
	s_lshl_b64 s[2:3], s[2:3], 3
	s_add_u32 s2, s14, s2
	v_mad_u64_u32 v[83:84], null, s13, v74, v[25:26]
	v_mad_u64_u32 v[84:85], null, s8, v79, 0
	s_waitcnt vmcnt(9)
	v_mad_u64_u32 v[86:87], null, s9, v75, v[41:42]
	v_mov_b32_e32 v74, v82
	s_addc_u32 s3, s15, s3
	v_mov_b32_e32 v25, v83
	s_and_b32 s0, s0, exec_lo
	v_mov_b32_e32 v82, v85
	v_mov_b32_e32 v41, v86
	v_mad_u64_u32 v[85:86], null, s9, v77, v[74:75]
	v_lshlrev_b64 v[24:25], 3, v[24:25]
	v_mad_u64_u32 v[86:87], null, s9, v79, v[82:83]
	v_lshlrev_b64 v[87:88], 3, v[40:41]
	v_add_nc_u32_e32 v77, 0x60, v75
	v_add_co_u32 v40, vcc_lo, s2, v24
	v_mov_b32_e32 v82, v85
	v_add_co_ci_u32_e32 v41, vcc_lo, s3, v25, vcc_lo
	v_add_co_u32 v24, vcc_lo, v40, v87
	v_lshlrev_b64 v[81:82], 3, v[81:82]
	v_add_co_ci_u32_e32 v25, vcc_lo, v41, v88, vcc_lo
	v_mad_u64_u32 v[87:88], null, s8, v80, 0
	v_mad_u64_u32 v[74:75], null, s8, v77, 0
	global_store_dwordx2 v[24:25], v[68:69], off
	v_add_co_u32 v24, vcc_lo, v40, v81
	v_add_co_ci_u32_e32 v25, vcc_lo, v41, v82, vcc_lo
	v_mov_b32_e32 v85, v86
	v_mad_u64_u32 v[81:82], null, s8, v78, 0
	global_store_dwordx2 v[24:25], v[70:71], off
	v_mov_b32_e32 v24, v88
	v_mov_b32_e32 v25, v75
	v_lshlrev_b64 v[68:69], 3, v[84:85]
	s_andn2_b32 s2, s16, exec_lo
	s_or_b32 s16, s2, s0
	v_mad_u64_u32 v[70:71], null, s9, v80, v[24:25]
	v_mad_u64_u32 v[79:80], null, s8, v76, 0
	;; [unrolled: 1-line block ×3, first 2 shown]
	v_add_co_u32 v68, vcc_lo, v40, v68
	v_add_co_ci_u32_e32 v69, vcc_lo, v41, v69, vcc_lo
	v_mov_b32_e32 v88, v70
	v_mov_b32_e32 v25, v80
	;; [unrolled: 1-line block ×4, first 2 shown]
	global_store_dwordx2 v[68:69], v[66:67], off
	v_lshlrev_b64 v[66:67], 3, v[87:88]
	v_mad_u64_u32 v[68:69], null, s9, v76, v[25:26]
	v_lshlrev_b64 v[69:70], 3, v[74:75]
	v_mad_u64_u32 v[24:25], null, s9, v78, v[24:25]
	v_add_co_u32 v66, vcc_lo, v40, v66
	v_add_co_ci_u32_e32 v67, vcc_lo, v41, v67, vcc_lo
	v_mov_b32_e32 v80, v68
	v_add_co_u32 v68, vcc_lo, v40, v69
	v_add_co_ci_u32_e32 v69, vcc_lo, v41, v70, vcc_lo
	v_mov_b32_e32 v82, v24
	v_lshlrev_b64 v[24:25], 3, v[79:80]
	global_store_dwordx2 v[66:67], v[64:65], off
	global_store_dwordx2 v[68:69], v[62:63], off
	v_lshlrev_b64 v[62:63], 3, v[81:82]
	v_add_co_u32 v24, vcc_lo, v40, v24
	v_add_co_ci_u32_e32 v25, vcc_lo, v41, v25, vcc_lo
	v_add_co_u32 v62, vcc_lo, v40, v62
	v_add_co_ci_u32_e32 v63, vcc_lo, v41, v63, vcc_lo
	global_store_dwordx2 v[24:25], v[60:61], off
	global_store_dwordx2 v[62:63], v[58:59], off
.LBB0_21:
	s_or_b32 exec_lo, exec_lo, s1
.LBB0_22:
	s_and_saveexec_b32 s0, s16
	s_cbranch_execnz .LBB0_24
; %bb.23:
	s_endpgm
.LBB0_24:
	s_waitcnt vmcnt(14)
	v_mul_f32_e32 v24, v35, v17
	v_mul_f32_e32 v17, v34, v17
	;; [unrolled: 1-line block ×4, first 2 shown]
	v_fmac_f32_e32 v24, v34, v16
	v_fma_f32 v16, v35, v16, -v17
	v_mul_f32_e32 v17, v31, v5
	v_mul_f32_e32 v5, v30, v5
	v_fmac_f32_e32 v25, v32, v18
	v_fma_f32 v18, v33, v18, -v19
	v_mul_f32_e32 v19, v37, v1
	v_fmac_f32_e32 v17, v30, v4
	v_fma_f32 v4, v31, v4, -v5
	v_mul_f32_e32 v5, v39, v3
	v_mul_f32_e32 v3, v38, v3
	;; [unrolled: 1-line block ×5, first 2 shown]
	v_fmac_f32_e32 v5, v38, v2
	v_fma_f32 v2, v39, v2, -v3
	v_fmac_f32_e32 v19, v36, v0
	v_fma_f32 v0, v37, v0, -v1
	;; [unrolled: 2-line block ×3, first 2 shown]
	v_add_f32_e32 v1, v24, v5
	v_add_f32_e32 v6, v16, v2
	v_sub_f32_e32 v2, v16, v2
	v_add_f32_e32 v7, v25, v19
	v_add_f32_e32 v16, v18, v0
	v_sub_f32_e32 v5, v24, v5
	v_sub_f32_e32 v19, v25, v19
	;; [unrolled: 1-line block ×3, first 2 shown]
	v_add_f32_e32 v18, v17, v34
	v_add_f32_e32 v24, v4, v3
	v_sub_f32_e32 v3, v3, v4
	v_add_f32_e32 v4, v7, v1
	v_add_f32_e32 v25, v16, v6
	v_sub_f32_e32 v17, v34, v17
	v_sub_f32_e32 v28, v7, v1
	;; [unrolled: 1-line block ×7, first 2 shown]
	v_add_f32_e32 v31, v3, v0
	v_sub_f32_e32 v33, v3, v0
	v_add_f32_e32 v4, v18, v4
	v_add_f32_e32 v18, v24, v25
	v_sub_f32_e32 v0, v0, v2
	v_add_f32_e32 v30, v17, v19
	v_sub_f32_e32 v32, v17, v19
	v_sub_f32_e32 v3, v2, v3
	;; [unrolled: 1-line block ×3, first 2 shown]
	v_add_f32_e32 v2, v31, v2
	v_add_f32_e32 v24, v26, v4
	;; [unrolled: 1-line block ×3, first 2 shown]
	v_mul_f32_e32 v1, 0x3f4a47b2, v1
	v_mul_f32_e32 v6, 0x3f4a47b2, v6
	;; [unrolled: 1-line block ×6, first 2 shown]
	v_sub_f32_e32 v17, v5, v17
	v_add_f32_e32 v5, v30, v5
	v_mul_f32_e32 v30, 0x3f08b237, v32
	v_mul_f32_e32 v32, 0xbf5ff5aa, v19
	v_fmamk_f32 v4, v4, 0xbf955555, v24
	v_fmamk_f32 v7, v7, 0x3d64c772, v1
	;; [unrolled: 1-line block ×3, first 2 shown]
	v_fma_f32 v26, 0x3f3bfb3b, v28, -v26
	v_fma_f32 v27, 0x3f3bfb3b, v29, -v27
	;; [unrolled: 1-line block ×4, first 2 shown]
	v_fmamk_f32 v29, v3, 0xbeae86e6, v31
	v_fma_f32 v0, 0xbf5ff5aa, v0, -v31
	v_fma_f32 v3, 0x3eae86e6, v3, -v33
	v_fmamk_f32 v18, v18, 0xbf955555, v25
	v_fmamk_f32 v28, v17, 0xbeae86e6, v30
	v_fma_f32 v17, 0x3eae86e6, v17, -v32
	v_add_f32_e32 v26, v26, v4
	v_add_f32_e32 v1, v1, v4
	v_fmac_f32_e32 v29, 0xbee1c552, v2
	v_fmac_f32_e32 v3, 0xbee1c552, v2
	;; [unrolled: 1-line block ×3, first 2 shown]
	s_waitcnt vmcnt(0)
	v_mul_f32_e32 v2, v54, v57
	v_fma_f32 v19, 0xbf5ff5aa, v19, -v30
	v_add_f32_e32 v7, v7, v4
	v_add_f32_e32 v16, v16, v18
	v_add_f32_e32 v27, v27, v18
	v_add_f32_e32 v4, v6, v18
	v_fmac_f32_e32 v28, 0xbee1c552, v5
	v_fmac_f32_e32 v17, 0xbee1c552, v5
	v_add_f32_e32 v18, v3, v1
	v_sub_f32_e32 v31, v26, v0
	v_add_f32_e32 v26, v0, v26
	v_mul_f32_e32 v0, v55, v57
	v_fmac_f32_e32 v2, v55, v56
	v_sub_f32_e32 v33, v1, v3
	v_mul_f32_e32 v3, v50, v53
	v_fmac_f32_e32 v19, 0xbee1c552, v5
	v_add_f32_e32 v5, v29, v7
	v_sub_f32_e32 v6, v16, v28
	v_sub_f32_e32 v30, v4, v17
	v_add_f32_e32 v34, v17, v4
	v_fma_f32 v1, v54, v56, -v0
	v_mul_f32_e32 v0, v25, v2
	v_sub_f32_e32 v29, v7, v29
	v_mul_f32_e32 v2, v24, v2
	v_mul_f32_e32 v4, v51, v53
	;; [unrolled: 1-line block ×3, first 2 shown]
	v_fmac_f32_e32 v3, v51, v52
	v_add_f32_e32 v32, v19, v27
	v_sub_f32_e32 v27, v27, v19
	v_add_f32_e32 v28, v28, v16
	v_fmac_f32_e32 v0, v24, v1
	v_fma_f32 v1, v25, v1, -v2
	v_mul_f32_e32 v16, v47, v49
	v_fma_f32 v17, v50, v52, -v4
	v_fmac_f32_e32 v7, v47, v48
	v_mul_f32_e32 v2, v6, v3
	v_mul_f32_e32 v19, v42, v45
	;; [unrolled: 1-line block ×3, first 2 shown]
	v_fma_f32 v16, v46, v48, -v16
	v_mul_f32_e32 v4, v30, v7
	v_fmac_f32_e32 v2, v5, v17
	v_mul_f32_e32 v5, v43, v45
	v_fmac_f32_e32 v19, v43, v44
	v_fma_f32 v3, v6, v17, -v3
	v_fmac_f32_e32 v4, v18, v16
	v_mul_f32_e32 v7, v18, v7
	v_fma_f32 v18, v42, v44, -v5
	v_mul_f32_e32 v6, v32, v19
	v_mul_f32_e32 v19, v31, v19
	;; [unrolled: 1-line block ×4, first 2 shown]
	v_fma_f32 v5, v30, v16, -v7
	v_fmac_f32_e32 v6, v31, v18
	v_fma_f32 v7, v32, v18, -v19
	v_mad_u64_u32 v[18:19], null, s8, v73, 0
	v_fmac_f32_e32 v17, v21, v22
	v_fma_f32 v21, v20, v22, -v23
	v_mul_f32_e32 v20, v13, v15
	v_mul_f32_e32 v22, v12, v15
	v_add_nc_u32_e32 v23, 38, v72
	v_mul_f32_e32 v15, v26, v17
	v_mul_f32_e32 v16, v27, v17
	v_fma_f32 v24, v12, v14, -v20
	v_fmac_f32_e32 v22, v13, v14
	v_mov_b32_e32 v14, v19
	v_fma_f32 v17, v27, v21, -v15
	v_mad_u64_u32 v[12:13], null, s8, v23, 0
	v_mul_f32_e32 v20, v34, v22
	v_mad_u64_u32 v[14:15], null, s9, v73, v[14:15]
	v_mul_f32_e32 v25, v8, v11
	v_mul_f32_e32 v15, v33, v22
	;; [unrolled: 1-line block ×3, first 2 shown]
	v_fmac_f32_e32 v16, v26, v21
	v_fmac_f32_e32 v20, v33, v24
	;; [unrolled: 1-line block ×3, first 2 shown]
	v_mov_b32_e32 v19, v14
	v_mad_u64_u32 v[22:23], null, s9, v23, v[13:14]
	v_fma_f32 v21, v34, v24, -v15
	v_fma_f32 v23, v8, v10, -v11
	v_add_nc_u32_e32 v24, 62, v72
	v_lshlrev_b64 v[9:10], 3, v[18:19]
	v_add_nc_u32_e32 v26, 0x86, v72
	v_mul_f32_e32 v8, v28, v25
	v_mov_b32_e32 v13, v22
	v_mad_u64_u32 v[14:15], null, s8, v24, 0
	v_add_co_u32 v18, vcc_lo, v40, v9
	v_add_co_ci_u32_e32 v19, vcc_lo, v41, v10, vcc_lo
	v_lshlrev_b64 v[10:11], 3, v[12:13]
	v_add_nc_u32_e32 v22, 0x6e, v72
	v_mul_f32_e32 v25, v29, v25
	global_store_dwordx2 v[18:19], v[0:1], off
	v_mov_b32_e32 v0, v15
	v_add_nc_u32_e32 v18, 0x56, v72
	v_add_co_u32 v10, vcc_lo, v40, v10
	v_add_co_ci_u32_e32 v11, vcc_lo, v41, v11, vcc_lo
	v_mad_u64_u32 v[0:1], null, s9, v24, v[0:1]
	v_mad_u64_u32 v[12:13], null, s8, v18, 0
	global_store_dwordx2 v[10:11], v[2:3], off
	v_mad_u64_u32 v[1:2], null, s8, v22, 0
	v_mad_u64_u32 v[10:11], null, s8, v26, 0
	v_mov_b32_e32 v15, v0
	v_mov_b32_e32 v0, v13
	v_fmac_f32_e32 v8, v29, v23
	v_fma_f32 v9, v28, v23, -v25
	v_mad_u64_u32 v[2:3], null, s9, v22, v[2:3]
	v_mad_u64_u32 v[18:19], null, s9, v18, v[0:1]
	v_add_nc_u32_e32 v19, 0x9e, v72
	v_lshlrev_b64 v[13:14], 3, v[14:15]
	v_mov_b32_e32 v0, v11
	v_mad_u64_u32 v[22:23], null, s8, v19, 0
	v_add_co_u32 v24, vcc_lo, v40, v13
	v_add_co_ci_u32_e32 v25, vcc_lo, v41, v14, vcc_lo
	v_mad_u64_u32 v[14:15], null, s9, v26, v[0:1]
	v_lshlrev_b64 v[1:2], 3, v[1:2]
	v_mov_b32_e32 v13, v18
	v_mov_b32_e32 v0, v23
	global_store_dwordx2 v[24:25], v[4:5], off
	v_lshlrev_b64 v[3:4], 3, v[12:13]
	v_mad_u64_u32 v[12:13], null, s9, v19, v[0:1]
	v_mov_b32_e32 v11, v14
	v_add_co_u32 v3, vcc_lo, v40, v3
	v_lshlrev_b64 v[10:11], 3, v[10:11]
	v_mov_b32_e32 v23, v12
	v_add_co_ci_u32_e32 v4, vcc_lo, v41, v4, vcc_lo
	v_add_co_u32 v0, vcc_lo, v40, v1
	v_lshlrev_b64 v[12:13], 3, v[22:23]
	v_add_co_ci_u32_e32 v1, vcc_lo, v41, v2, vcc_lo
	v_add_co_u32 v10, vcc_lo, v40, v10
	v_add_co_ci_u32_e32 v11, vcc_lo, v41, v11, vcc_lo
	v_add_co_u32 v12, vcc_lo, v40, v12
	v_add_co_ci_u32_e32 v13, vcc_lo, v41, v13, vcc_lo
	global_store_dwordx2 v[3:4], v[6:7], off
	global_store_dwordx2 v[0:1], v[16:17], off
	global_store_dwordx2 v[10:11], v[20:21], off
	global_store_dwordx2 v[12:13], v[8:9], off
	s_endpgm
	.section	.rodata,"a",@progbits
	.p2align	6, 0x0
	.amdhsa_kernel fft_rtc_back_len168_factors_2_3_4_7_wgs_196_tpt_14_dim3_sp_ip_CI_sbcc_twdbase8_2step_dirReg
		.amdhsa_group_segment_fixed_size 0
		.amdhsa_private_segment_fixed_size 0
		.amdhsa_kernarg_size 88
		.amdhsa_user_sgpr_count 6
		.amdhsa_user_sgpr_private_segment_buffer 1
		.amdhsa_user_sgpr_dispatch_ptr 0
		.amdhsa_user_sgpr_queue_ptr 0
		.amdhsa_user_sgpr_kernarg_segment_ptr 1
		.amdhsa_user_sgpr_dispatch_id 0
		.amdhsa_user_sgpr_flat_scratch_init 0
		.amdhsa_user_sgpr_private_segment_size 0
		.amdhsa_wavefront_size32 1
		.amdhsa_uses_dynamic_stack 0
		.amdhsa_system_sgpr_private_segment_wavefront_offset 0
		.amdhsa_system_sgpr_workgroup_id_x 1
		.amdhsa_system_sgpr_workgroup_id_y 0
		.amdhsa_system_sgpr_workgroup_id_z 0
		.amdhsa_system_sgpr_workgroup_info 0
		.amdhsa_system_vgpr_workitem_id 0
		.amdhsa_next_free_vgpr 115
		.amdhsa_next_free_sgpr 26
		.amdhsa_reserve_vcc 1
		.amdhsa_reserve_flat_scratch 0
		.amdhsa_float_round_mode_32 0
		.amdhsa_float_round_mode_16_64 0
		.amdhsa_float_denorm_mode_32 3
		.amdhsa_float_denorm_mode_16_64 3
		.amdhsa_dx10_clamp 1
		.amdhsa_ieee_mode 1
		.amdhsa_fp16_overflow 0
		.amdhsa_workgroup_processor_mode 1
		.amdhsa_memory_ordered 1
		.amdhsa_forward_progress 0
		.amdhsa_shared_vgpr_count 0
		.amdhsa_exception_fp_ieee_invalid_op 0
		.amdhsa_exception_fp_denorm_src 0
		.amdhsa_exception_fp_ieee_div_zero 0
		.amdhsa_exception_fp_ieee_overflow 0
		.amdhsa_exception_fp_ieee_underflow 0
		.amdhsa_exception_fp_ieee_inexact 0
		.amdhsa_exception_int_div_zero 0
	.end_amdhsa_kernel
	.text
.Lfunc_end0:
	.size	fft_rtc_back_len168_factors_2_3_4_7_wgs_196_tpt_14_dim3_sp_ip_CI_sbcc_twdbase8_2step_dirReg, .Lfunc_end0-fft_rtc_back_len168_factors_2_3_4_7_wgs_196_tpt_14_dim3_sp_ip_CI_sbcc_twdbase8_2step_dirReg
                                        ; -- End function
	.section	.AMDGPU.csdata,"",@progbits
; Kernel info:
; codeLenInByte = 8880
; NumSgprs: 28
; NumVgprs: 115
; ScratchSize: 0
; MemoryBound: 0
; FloatMode: 240
; IeeeMode: 1
; LDSByteSize: 0 bytes/workgroup (compile time only)
; SGPRBlocks: 3
; VGPRBlocks: 14
; NumSGPRsForWavesPerEU: 28
; NumVGPRsForWavesPerEU: 115
; Occupancy: 8
; WaveLimiterHint : 1
; COMPUTE_PGM_RSRC2:SCRATCH_EN: 0
; COMPUTE_PGM_RSRC2:USER_SGPR: 6
; COMPUTE_PGM_RSRC2:TRAP_HANDLER: 0
; COMPUTE_PGM_RSRC2:TGID_X_EN: 1
; COMPUTE_PGM_RSRC2:TGID_Y_EN: 0
; COMPUTE_PGM_RSRC2:TGID_Z_EN: 0
; COMPUTE_PGM_RSRC2:TIDIG_COMP_CNT: 0
	.text
	.p2alignl 6, 3214868480
	.fill 48, 4, 3214868480
	.type	__hip_cuid_3f05dbaf03af26f7,@object ; @__hip_cuid_3f05dbaf03af26f7
	.section	.bss,"aw",@nobits
	.globl	__hip_cuid_3f05dbaf03af26f7
__hip_cuid_3f05dbaf03af26f7:
	.byte	0                               ; 0x0
	.size	__hip_cuid_3f05dbaf03af26f7, 1

	.ident	"AMD clang version 19.0.0git (https://github.com/RadeonOpenCompute/llvm-project roc-6.4.0 25133 c7fe45cf4b819c5991fe208aaa96edf142730f1d)"
	.section	".note.GNU-stack","",@progbits
	.addrsig
	.addrsig_sym __hip_cuid_3f05dbaf03af26f7
	.amdgpu_metadata
---
amdhsa.kernels:
  - .args:
      - .actual_access:  read_only
        .address_space:  global
        .offset:         0
        .size:           8
        .value_kind:     global_buffer
      - .address_space:  global
        .offset:         8
        .size:           8
        .value_kind:     global_buffer
      - .actual_access:  read_only
        .address_space:  global
        .offset:         16
        .size:           8
        .value_kind:     global_buffer
      - .actual_access:  read_only
        .address_space:  global
        .offset:         24
        .size:           8
        .value_kind:     global_buffer
      - .offset:         32
        .size:           8
        .value_kind:     by_value
      - .actual_access:  read_only
        .address_space:  global
        .offset:         40
        .size:           8
        .value_kind:     global_buffer
      - .actual_access:  read_only
        .address_space:  global
        .offset:         48
        .size:           8
        .value_kind:     global_buffer
      - .offset:         56
        .size:           4
        .value_kind:     by_value
      - .actual_access:  read_only
        .address_space:  global
        .offset:         64
        .size:           8
        .value_kind:     global_buffer
      - .actual_access:  read_only
        .address_space:  global
        .offset:         72
        .size:           8
        .value_kind:     global_buffer
      - .address_space:  global
        .offset:         80
        .size:           8
        .value_kind:     global_buffer
    .group_segment_fixed_size: 0
    .kernarg_segment_align: 8
    .kernarg_segment_size: 88
    .language:       OpenCL C
    .language_version:
      - 2
      - 0
    .max_flat_workgroup_size: 196
    .name:           fft_rtc_back_len168_factors_2_3_4_7_wgs_196_tpt_14_dim3_sp_ip_CI_sbcc_twdbase8_2step_dirReg
    .private_segment_fixed_size: 0
    .sgpr_count:     28
    .sgpr_spill_count: 0
    .symbol:         fft_rtc_back_len168_factors_2_3_4_7_wgs_196_tpt_14_dim3_sp_ip_CI_sbcc_twdbase8_2step_dirReg.kd
    .uniform_work_group_size: 1
    .uses_dynamic_stack: false
    .vgpr_count:     115
    .vgpr_spill_count: 0
    .wavefront_size: 32
    .workgroup_processor_mode: 1
amdhsa.target:   amdgcn-amd-amdhsa--gfx1030
amdhsa.version:
  - 1
  - 2
...

	.end_amdgpu_metadata
